;; amdgpu-corpus repo=ROCm/rocFFT kind=compiled arch=gfx906 opt=O3
	.text
	.amdgcn_target "amdgcn-amd-amdhsa--gfx906"
	.amdhsa_code_object_version 6
	.protected	fft_rtc_fwd_len100_factors_10_10_wgs_60_tpt_10_halfLds_dp_ip_CI_unitstride_sbrr_C2R_dirReg ; -- Begin function fft_rtc_fwd_len100_factors_10_10_wgs_60_tpt_10_halfLds_dp_ip_CI_unitstride_sbrr_C2R_dirReg
	.globl	fft_rtc_fwd_len100_factors_10_10_wgs_60_tpt_10_halfLds_dp_ip_CI_unitstride_sbrr_C2R_dirReg
	.p2align	8
	.type	fft_rtc_fwd_len100_factors_10_10_wgs_60_tpt_10_halfLds_dp_ip_CI_unitstride_sbrr_C2R_dirReg,@function
fft_rtc_fwd_len100_factors_10_10_wgs_60_tpt_10_halfLds_dp_ip_CI_unitstride_sbrr_C2R_dirReg: ; @fft_rtc_fwd_len100_factors_10_10_wgs_60_tpt_10_halfLds_dp_ip_CI_unitstride_sbrr_C2R_dirReg
; %bb.0:
	s_load_dwordx2 s[2:3], s[4:5], 0x50
	s_load_dwordx4 s[8:11], s[4:5], 0x0
	s_load_dwordx2 s[12:13], s[4:5], 0x18
	v_mul_u32_u24_e32 v1, 0x199a, v0
	v_lshrrev_b32_e32 v1, 16, v1
	v_mad_u64_u32 v[1:2], s[0:1], s6, 6, v[1:2]
	v_mov_b32_e32 v5, 0
	s_waitcnt lgkmcnt(0)
	v_cmp_lt_u64_e64 s[0:1], s[10:11], 2
	v_mov_b32_e32 v2, v5
	v_mov_b32_e32 v3, 0
	;; [unrolled: 1-line block ×3, first 2 shown]
	s_and_b64 vcc, exec, s[0:1]
	v_mov_b32_e32 v4, 0
	v_mov_b32_e32 v9, v1
	s_cbranch_vccnz .LBB0_8
; %bb.1:
	s_load_dwordx2 s[0:1], s[4:5], 0x10
	s_add_u32 s6, s12, 8
	s_addc_u32 s7, s13, 0
	v_mov_b32_e32 v3, 0
	v_mov_b32_e32 v8, v2
	s_waitcnt lgkmcnt(0)
	s_add_u32 s16, s0, 8
	s_mov_b64 s[14:15], 1
	v_mov_b32_e32 v4, 0
	s_addc_u32 s17, s1, 0
	v_mov_b32_e32 v7, v1
.LBB0_2:                                ; =>This Inner Loop Header: Depth=1
	s_load_dwordx2 s[18:19], s[16:17], 0x0
                                        ; implicit-def: $vgpr9_vgpr10
	s_waitcnt lgkmcnt(0)
	v_or_b32_e32 v6, s19, v8
	v_cmp_ne_u64_e32 vcc, 0, v[5:6]
	s_and_saveexec_b64 s[0:1], vcc
	s_xor_b64 s[20:21], exec, s[0:1]
	s_cbranch_execz .LBB0_4
; %bb.3:                                ;   in Loop: Header=BB0_2 Depth=1
	v_cvt_f32_u32_e32 v2, s18
	v_cvt_f32_u32_e32 v6, s19
	s_sub_u32 s0, 0, s18
	s_subb_u32 s1, 0, s19
	v_mac_f32_e32 v2, 0x4f800000, v6
	v_rcp_f32_e32 v2, v2
	v_mul_f32_e32 v2, 0x5f7ffffc, v2
	v_mul_f32_e32 v6, 0x2f800000, v2
	v_trunc_f32_e32 v6, v6
	v_mac_f32_e32 v2, 0xcf800000, v6
	v_cvt_u32_f32_e32 v6, v6
	v_cvt_u32_f32_e32 v2, v2
	v_mul_lo_u32 v9, s0, v6
	v_mul_hi_u32 v10, s0, v2
	v_mul_lo_u32 v12, s1, v2
	v_mul_lo_u32 v11, s0, v2
	v_add_u32_e32 v9, v10, v9
	v_add_u32_e32 v9, v9, v12
	v_mul_hi_u32 v10, v2, v11
	v_mul_lo_u32 v12, v2, v9
	v_mul_hi_u32 v14, v2, v9
	v_mul_hi_u32 v13, v6, v11
	v_mul_lo_u32 v11, v6, v11
	v_mul_hi_u32 v15, v6, v9
	v_add_co_u32_e32 v10, vcc, v10, v12
	v_addc_co_u32_e32 v12, vcc, 0, v14, vcc
	v_mul_lo_u32 v9, v6, v9
	v_add_co_u32_e32 v10, vcc, v10, v11
	v_addc_co_u32_e32 v10, vcc, v12, v13, vcc
	v_addc_co_u32_e32 v11, vcc, 0, v15, vcc
	v_add_co_u32_e32 v9, vcc, v10, v9
	v_addc_co_u32_e32 v10, vcc, 0, v11, vcc
	v_add_co_u32_e32 v2, vcc, v2, v9
	v_addc_co_u32_e32 v6, vcc, v6, v10, vcc
	v_mul_lo_u32 v9, s0, v6
	v_mul_hi_u32 v10, s0, v2
	v_mul_lo_u32 v11, s1, v2
	v_mul_lo_u32 v12, s0, v2
	v_add_u32_e32 v9, v10, v9
	v_add_u32_e32 v9, v9, v11
	v_mul_lo_u32 v13, v2, v9
	v_mul_hi_u32 v14, v2, v12
	v_mul_hi_u32 v15, v2, v9
	;; [unrolled: 1-line block ×3, first 2 shown]
	v_mul_lo_u32 v12, v6, v12
	v_mul_hi_u32 v10, v6, v9
	v_add_co_u32_e32 v13, vcc, v14, v13
	v_addc_co_u32_e32 v14, vcc, 0, v15, vcc
	v_mul_lo_u32 v9, v6, v9
	v_add_co_u32_e32 v12, vcc, v13, v12
	v_addc_co_u32_e32 v11, vcc, v14, v11, vcc
	v_addc_co_u32_e32 v10, vcc, 0, v10, vcc
	v_add_co_u32_e32 v9, vcc, v11, v9
	v_addc_co_u32_e32 v10, vcc, 0, v10, vcc
	v_add_co_u32_e32 v2, vcc, v2, v9
	v_addc_co_u32_e32 v6, vcc, v6, v10, vcc
	v_mad_u64_u32 v[9:10], s[0:1], v7, v6, 0
	v_mul_hi_u32 v11, v7, v2
	v_add_co_u32_e32 v13, vcc, v11, v9
	v_addc_co_u32_e32 v14, vcc, 0, v10, vcc
	v_mad_u64_u32 v[9:10], s[0:1], v8, v2, 0
	v_mad_u64_u32 v[11:12], s[0:1], v8, v6, 0
	v_add_co_u32_e32 v2, vcc, v13, v9
	v_addc_co_u32_e32 v2, vcc, v14, v10, vcc
	v_addc_co_u32_e32 v6, vcc, 0, v12, vcc
	v_add_co_u32_e32 v2, vcc, v2, v11
	v_addc_co_u32_e32 v6, vcc, 0, v6, vcc
	v_mul_lo_u32 v11, s19, v2
	v_mul_lo_u32 v12, s18, v6
	v_mad_u64_u32 v[9:10], s[0:1], s18, v2, 0
	v_add3_u32 v10, v10, v12, v11
	v_sub_u32_e32 v11, v8, v10
	v_mov_b32_e32 v12, s19
	v_sub_co_u32_e32 v9, vcc, v7, v9
	v_subb_co_u32_e64 v11, s[0:1], v11, v12, vcc
	v_subrev_co_u32_e64 v12, s[0:1], s18, v9
	v_subbrev_co_u32_e64 v11, s[0:1], 0, v11, s[0:1]
	v_cmp_le_u32_e64 s[0:1], s19, v11
	v_cndmask_b32_e64 v13, 0, -1, s[0:1]
	v_cmp_le_u32_e64 s[0:1], s18, v12
	v_cndmask_b32_e64 v12, 0, -1, s[0:1]
	v_cmp_eq_u32_e64 s[0:1], s19, v11
	v_cndmask_b32_e64 v11, v13, v12, s[0:1]
	v_add_co_u32_e64 v12, s[0:1], 2, v2
	v_addc_co_u32_e64 v13, s[0:1], 0, v6, s[0:1]
	v_add_co_u32_e64 v14, s[0:1], 1, v2
	v_addc_co_u32_e64 v15, s[0:1], 0, v6, s[0:1]
	v_subb_co_u32_e32 v10, vcc, v8, v10, vcc
	v_cmp_ne_u32_e64 s[0:1], 0, v11
	v_cmp_le_u32_e32 vcc, s19, v10
	v_cndmask_b32_e64 v11, v15, v13, s[0:1]
	v_cndmask_b32_e64 v13, 0, -1, vcc
	v_cmp_le_u32_e32 vcc, s18, v9
	v_cndmask_b32_e64 v9, 0, -1, vcc
	v_cmp_eq_u32_e32 vcc, s19, v10
	v_cndmask_b32_e32 v9, v13, v9, vcc
	v_cmp_ne_u32_e32 vcc, 0, v9
	v_cndmask_b32_e32 v10, v6, v11, vcc
	v_cndmask_b32_e64 v6, v14, v12, s[0:1]
	v_cndmask_b32_e32 v9, v2, v6, vcc
.LBB0_4:                                ;   in Loop: Header=BB0_2 Depth=1
	s_andn2_saveexec_b64 s[0:1], s[20:21]
	s_cbranch_execz .LBB0_6
; %bb.5:                                ;   in Loop: Header=BB0_2 Depth=1
	v_cvt_f32_u32_e32 v2, s18
	s_sub_i32 s20, 0, s18
	v_rcp_iflag_f32_e32 v2, v2
	v_mul_f32_e32 v2, 0x4f7ffffe, v2
	v_cvt_u32_f32_e32 v2, v2
	v_mul_lo_u32 v6, s20, v2
	v_mul_hi_u32 v6, v2, v6
	v_add_u32_e32 v2, v2, v6
	v_mul_hi_u32 v2, v7, v2
	v_mul_lo_u32 v6, v2, s18
	v_add_u32_e32 v9, 1, v2
	v_sub_u32_e32 v6, v7, v6
	v_subrev_u32_e32 v10, s18, v6
	v_cmp_le_u32_e32 vcc, s18, v6
	v_cndmask_b32_e32 v6, v6, v10, vcc
	v_cndmask_b32_e32 v2, v2, v9, vcc
	v_add_u32_e32 v9, 1, v2
	v_cmp_le_u32_e32 vcc, s18, v6
	v_cndmask_b32_e32 v9, v2, v9, vcc
	v_mov_b32_e32 v10, v5
.LBB0_6:                                ;   in Loop: Header=BB0_2 Depth=1
	s_or_b64 exec, exec, s[0:1]
	v_mul_lo_u32 v2, v10, s18
	v_mul_lo_u32 v6, v9, s19
	v_mad_u64_u32 v[11:12], s[0:1], v9, s18, 0
	s_load_dwordx2 s[0:1], s[6:7], 0x0
	s_add_u32 s14, s14, 1
	v_add3_u32 v2, v12, v6, v2
	v_sub_co_u32_e32 v6, vcc, v7, v11
	v_subb_co_u32_e32 v2, vcc, v8, v2, vcc
	s_waitcnt lgkmcnt(0)
	v_mul_lo_u32 v2, s0, v2
	v_mul_lo_u32 v7, s1, v6
	v_mad_u64_u32 v[3:4], s[0:1], s0, v6, v[3:4]
	s_addc_u32 s15, s15, 0
	s_add_u32 s6, s6, 8
	v_add3_u32 v4, v7, v4, v2
	v_mov_b32_e32 v6, s10
	v_mov_b32_e32 v7, s11
	s_addc_u32 s7, s7, 0
	v_cmp_ge_u64_e32 vcc, s[14:15], v[6:7]
	s_add_u32 s16, s16, 8
	s_addc_u32 s17, s17, 0
	s_cbranch_vccnz .LBB0_8
; %bb.7:                                ;   in Loop: Header=BB0_2 Depth=1
	v_mov_b32_e32 v7, v9
	v_mov_b32_e32 v8, v10
	s_branch .LBB0_2
.LBB0_8:
	s_lshl_b64 s[0:1], s[10:11], 3
	s_add_u32 s0, s12, s0
	s_addc_u32 s1, s13, s1
	s_load_dwordx2 s[0:1], s[0:1], 0x0
	s_mov_b32 s6, 0xaaaaaaab
	v_mul_hi_u32 v2, v1, s6
	s_waitcnt lgkmcnt(0)
	v_mul_lo_u32 v7, s0, v10
	v_mul_lo_u32 v8, s1, v9
	v_mad_u64_u32 v[5:6], s[0:1], s0, v9, v[3:4]
	v_lshrrev_b32_e32 v2, 2, v2
	s_load_dwordx2 s[0:1], s[4:5], 0x20
	v_mul_lo_u32 v2, v2, 6
	s_mov_b32 s4, 0x1999999a
	v_mul_hi_u32 v3, v0, s4
	v_add3_u32 v6, v8, v6, v7
	v_sub_u32_e32 v1, v1, v2
	v_mul_u32_u24_e32 v2, 0x65, v1
	s_waitcnt lgkmcnt(0)
	v_cmp_gt_u64_e32 vcc, s[0:1], v[9:10]
	v_mul_u32_u24_e32 v1, 10, v3
	v_lshlrev_b64 v[6:7], 4, v[5:6]
	v_sub_u32_e32 v4, v0, v1
	v_lshlrev_b32_e32 v16, 4, v2
	s_and_saveexec_b64 s[4:5], vcc
	s_cbranch_execz .LBB0_12
; %bb.9:
	v_mov_b32_e32 v5, 0
	v_mov_b32_e32 v1, s3
	v_add_co_u32_e64 v0, s[0:1], s2, v6
	v_lshlrev_b64 v[8:9], 4, v[4:5]
	v_addc_co_u32_e64 v1, s[0:1], v1, v7, s[0:1]
	v_add_co_u32_e64 v49, s[0:1], v0, v8
	v_addc_co_u32_e64 v50, s[0:1], v1, v9, s[0:1]
	global_load_dwordx4 v[8:11], v[49:50], off
	global_load_dwordx4 v[12:15], v[49:50], off offset:160
	global_load_dwordx4 v[17:20], v[49:50], off offset:320
	;; [unrolled: 1-line block ×9, first 2 shown]
	v_lshlrev_b32_e32 v3, 4, v4
	v_add3_u32 v3, 0, v16, v3
	v_cmp_eq_u32_e64 s[0:1], 9, v4
	s_waitcnt vmcnt(9)
	ds_write_b128 v3, v[8:11]
	s_waitcnt vmcnt(8)
	ds_write_b128 v3, v[12:15] offset:160
	s_waitcnt vmcnt(7)
	ds_write_b128 v3, v[17:20] offset:320
	;; [unrolled: 2-line block ×9, first 2 shown]
	s_and_saveexec_b64 s[6:7], s[0:1]
	s_cbranch_execz .LBB0_11
; %bb.10:
	global_load_dwordx4 v[8:11], v[0:1], off offset:1600
	v_mov_b32_e32 v4, 9
	s_waitcnt vmcnt(0)
	ds_write_b128 v3, v[8:11] offset:1456
.LBB0_11:
	s_or_b64 exec, exec, s[6:7]
.LBB0_12:
	s_or_b64 exec, exec, s[4:5]
	v_lshl_add_u32 v14, v2, 4, 0
	v_lshlrev_b32_e32 v17, 4, v4
	v_add_u32_e32 v15, v14, v17
	s_waitcnt lgkmcnt(0)
	; wave barrier
	s_waitcnt lgkmcnt(0)
	v_sub_u32_e32 v18, v14, v17
	ds_read_b64 v[10:11], v15
	ds_read_b64 v[12:13], v18 offset:1600
	v_cmp_ne_u32_e64 s[0:1], 0, v4
                                        ; implicit-def: $vgpr8_vgpr9
	s_waitcnt lgkmcnt(0)
	v_add_f64 v[0:1], v[10:11], v[12:13]
	v_add_f64 v[2:3], v[10:11], -v[12:13]
	s_and_saveexec_b64 s[4:5], s[0:1]
	s_xor_b64 s[4:5], exec, s[4:5]
	s_cbranch_execz .LBB0_14
; %bb.13:
	v_mov_b32_e32 v5, 0
	v_lshlrev_b64 v[0:1], 4, v[4:5]
	v_mov_b32_e32 v2, s9
	v_add_co_u32_e64 v0, s[0:1], s8, v0
	v_addc_co_u32_e64 v1, s[0:1], v2, v1, s[0:1]
	global_load_dwordx4 v[19:22], v[0:1], off offset:1440
	ds_read_b64 v[0:1], v18 offset:1608
	ds_read_b64 v[2:3], v15 offset:8
	v_add_f64 v[8:9], v[10:11], v[12:13]
	v_add_f64 v[12:13], v[10:11], -v[12:13]
	s_waitcnt lgkmcnt(0)
	v_add_f64 v[23:24], v[0:1], v[2:3]
	v_add_f64 v[0:1], v[2:3], -v[0:1]
	s_waitcnt vmcnt(0)
	v_fma_f64 v[2:3], -v[12:13], v[21:22], v[8:9]
	v_fma_f64 v[10:11], v[23:24], v[21:22], -v[0:1]
	v_fma_f64 v[25:26], v[12:13], v[21:22], v[8:9]
	v_fma_f64 v[21:22], v[23:24], v[21:22], v[0:1]
	v_fma_f64 v[8:9], v[23:24], v[19:20], v[2:3]
	v_fma_f64 v[10:11], v[12:13], v[19:20], v[10:11]
	v_fma_f64 v[0:1], -v[23:24], v[19:20], v[25:26]
	v_fma_f64 v[2:3], v[12:13], v[19:20], v[21:22]
	ds_write_b128 v18, v[8:11] offset:1600
	v_mov_b32_e32 v9, v5
	v_mov_b32_e32 v8, v4
.LBB0_14:
	s_andn2_saveexec_b64 s[0:1], s[4:5]
	s_cbranch_execz .LBB0_16
; %bb.15:
	ds_read_b128 v[8:11], v14 offset:800
	s_waitcnt lgkmcnt(0)
	v_add_f64 v[19:20], v[8:9], v[8:9]
	v_mul_f64 v[21:22], v[10:11], -2.0
	v_mov_b32_e32 v8, 0
	v_mov_b32_e32 v9, 0
	ds_write_b128 v14, v[19:22] offset:800
.LBB0_16:
	s_or_b64 exec, exec, s[0:1]
	s_add_u32 s0, s8, 0x5a0
	v_lshlrev_b64 v[8:9], 4, v[8:9]
	s_addc_u32 s1, s9, 0
	v_mov_b32_e32 v5, s1
	v_add_co_u32_e64 v31, s[0:1], s0, v8
	v_addc_co_u32_e64 v32, s[0:1], v5, v9, s[0:1]
	global_load_dwordx4 v[8:11], v[31:32], off offset:160
	global_load_dwordx4 v[19:22], v[31:32], off offset:320
	ds_write_b128 v15, v[0:3]
	ds_read_b128 v[0:3], v15 offset:160
	ds_read_b128 v[23:26], v18 offset:1440
	global_load_dwordx4 v[27:30], v[31:32], off offset:480
	v_add3_u32 v5, 0, v17, v16
	s_mov_b32 s6, 0x134454ff
	s_mov_b32 s7, 0x3fee6f0e
	s_waitcnt lgkmcnt(0)
	v_add_f64 v[12:13], v[0:1], v[23:24]
	v_add_f64 v[33:34], v[25:26], v[2:3]
	v_add_f64 v[23:24], v[0:1], -v[23:24]
	v_add_f64 v[0:1], v[2:3], -v[25:26]
	s_mov_b32 s5, 0xbfee6f0e
	s_mov_b32 s4, s6
	;; [unrolled: 1-line block ×10, first 2 shown]
	s_movk_i32 s16, 0x90
	v_mad_u32_u24 v82, v4, s16, v5
	s_waitcnt vmcnt(2)
	v_fma_f64 v[2:3], v[23:24], v[10:11], v[12:13]
	v_fma_f64 v[25:26], v[33:34], v[10:11], v[0:1]
	v_fma_f64 v[12:13], -v[23:24], v[10:11], v[12:13]
	v_fma_f64 v[35:36], v[33:34], v[10:11], -v[0:1]
	v_fma_f64 v[0:1], -v[33:34], v[8:9], v[2:3]
	v_fma_f64 v[2:3], v[23:24], v[8:9], v[25:26]
	v_fma_f64 v[10:11], v[33:34], v[8:9], v[12:13]
	;; [unrolled: 1-line block ×3, first 2 shown]
	ds_write_b128 v15, v[0:3] offset:160
	ds_write_b128 v18, v[10:13] offset:1440
	ds_read_b128 v[0:3], v15 offset:320
	ds_read_b128 v[8:11], v18 offset:1280
	global_load_dwordx4 v[23:26], v[31:32], off offset:640
	s_waitcnt lgkmcnt(0)
	v_add_f64 v[12:13], v[0:1], v[8:9]
	v_add_f64 v[31:32], v[10:11], v[2:3]
	v_add_f64 v[33:34], v[0:1], -v[8:9]
	v_add_f64 v[0:1], v[2:3], -v[10:11]
	s_waitcnt vmcnt(2)
	v_fma_f64 v[2:3], v[33:34], v[21:22], v[12:13]
	v_fma_f64 v[8:9], v[31:32], v[21:22], v[0:1]
	v_fma_f64 v[10:11], -v[33:34], v[21:22], v[12:13]
	v_fma_f64 v[12:13], v[31:32], v[21:22], -v[0:1]
	v_fma_f64 v[0:1], -v[31:32], v[19:20], v[2:3]
	v_fma_f64 v[2:3], v[33:34], v[19:20], v[8:9]
	v_fma_f64 v[8:9], v[31:32], v[19:20], v[10:11]
	v_fma_f64 v[10:11], v[33:34], v[19:20], v[12:13]
	ds_write_b128 v15, v[0:3] offset:320
	ds_write_b128 v18, v[8:11] offset:1280
	ds_read_b128 v[0:3], v15 offset:480
	ds_read_b128 v[8:11], v18 offset:1120
	s_waitcnt lgkmcnt(0)
	v_add_f64 v[12:13], v[0:1], v[8:9]
	v_add_f64 v[19:20], v[10:11], v[2:3]
	v_add_f64 v[21:22], v[0:1], -v[8:9]
	v_add_f64 v[0:1], v[2:3], -v[10:11]
	s_waitcnt vmcnt(1)
	v_fma_f64 v[2:3], v[21:22], v[29:30], v[12:13]
	v_fma_f64 v[8:9], v[19:20], v[29:30], v[0:1]
	v_fma_f64 v[10:11], -v[21:22], v[29:30], v[12:13]
	v_fma_f64 v[12:13], v[19:20], v[29:30], -v[0:1]
	v_fma_f64 v[0:1], -v[19:20], v[27:28], v[2:3]
	v_fma_f64 v[2:3], v[21:22], v[27:28], v[8:9]
	v_fma_f64 v[8:9], v[19:20], v[27:28], v[10:11]
	;; [unrolled: 1-line block ×3, first 2 shown]
	ds_write_b128 v15, v[0:3] offset:480
	ds_write_b128 v18, v[8:11] offset:1120
	ds_read_b128 v[0:3], v15 offset:640
	ds_read_b128 v[8:11], v18 offset:960
	s_waitcnt lgkmcnt(0)
	v_add_f64 v[12:13], v[0:1], v[8:9]
	v_add_f64 v[19:20], v[10:11], v[2:3]
	v_add_f64 v[21:22], v[0:1], -v[8:9]
	v_add_f64 v[0:1], v[2:3], -v[10:11]
	s_waitcnt vmcnt(0)
	v_fma_f64 v[2:3], v[21:22], v[25:26], v[12:13]
	v_fma_f64 v[8:9], v[19:20], v[25:26], v[0:1]
	v_fma_f64 v[10:11], -v[21:22], v[25:26], v[12:13]
	v_fma_f64 v[12:13], v[19:20], v[25:26], -v[0:1]
	v_fma_f64 v[0:1], -v[19:20], v[23:24], v[2:3]
	v_fma_f64 v[2:3], v[21:22], v[23:24], v[8:9]
	v_fma_f64 v[8:9], v[19:20], v[23:24], v[10:11]
	;; [unrolled: 1-line block ×3, first 2 shown]
	ds_write_b128 v15, v[0:3] offset:640
	ds_write_b128 v18, v[8:11] offset:960
	s_waitcnt lgkmcnt(0)
	; wave barrier
	s_waitcnt lgkmcnt(0)
	s_waitcnt lgkmcnt(0)
	; wave barrier
	s_waitcnt lgkmcnt(0)
	ds_read_b128 v[8:11], v15
	ds_read_b128 v[16:19], v5 offset:320
	ds_read_b128 v[0:3], v5 offset:1280
	ds_read_b128 v[20:23], v5 offset:640
	ds_read_b128 v[24:27], v5 offset:800
	ds_read_b128 v[28:31], v5 offset:960
	ds_read_b128 v[32:35], v5 offset:1120
	ds_read_b128 v[36:39], v5 offset:160
	ds_read_b128 v[40:43], v5 offset:480
	ds_read_b128 v[44:47], v5 offset:1440
	s_waitcnt lgkmcnt(8)
	v_add_f64 v[12:13], v[8:9], v[16:17]
	v_add_f64 v[56:57], v[10:11], v[18:19]
	s_waitcnt lgkmcnt(4)
	v_add_f64 v[48:49], v[20:21], v[28:29]
	v_add_f64 v[52:53], v[22:23], -v[30:31]
	v_add_f64 v[54:55], v[16:17], -v[20:21]
	;; [unrolled: 1-line block ×3, first 2 shown]
	v_add_f64 v[64:65], v[22:23], v[30:31]
	v_add_f64 v[66:67], v[20:21], -v[28:29]
	v_add_f64 v[68:69], v[18:19], -v[22:23]
	;; [unrolled: 1-line block ×3, first 2 shown]
	s_waitcnt lgkmcnt(3)
	v_add_f64 v[72:73], v[24:25], v[32:33]
	s_waitcnt lgkmcnt(0)
	v_add_f64 v[74:75], v[40:41], v[44:45]
	v_add_f64 v[76:77], v[26:27], v[34:35]
	;; [unrolled: 1-line block ×6, first 2 shown]
	v_add_f64 v[58:59], v[0:1], -v[28:29]
	v_add_f64 v[80:81], v[36:37], v[40:41]
	v_add_f64 v[56:57], v[42:43], -v[46:47]
	v_fma_f64 v[72:73], v[72:73], -0.5, v[36:37]
	v_fma_f64 v[36:37], v[74:75], -0.5, v[36:37]
	;; [unrolled: 1-line block ×4, first 2 shown]
	v_add_f64 v[76:77], v[42:43], -v[26:27]
	v_add_f64 v[42:43], v[26:27], -v[42:43]
	;; [unrolled: 1-line block ×3, first 2 shown]
	v_add_f64 v[22:23], v[22:23], v[26:27]
	v_add_f64 v[26:27], v[28:29], -v[0:1]
	v_add_f64 v[50:51], v[18:19], -v[2:3]
	v_add_f64 v[60:61], v[16:17], v[0:1]
	v_add_f64 v[18:19], v[18:19], v[2:3]
	;; [unrolled: 1-line block ×3, first 2 shown]
	v_add_f64 v[58:59], v[2:3], -v[30:31]
	v_fma_f64 v[48:49], v[48:49], -0.5, v[8:9]
	v_add_f64 v[80:81], v[80:81], v[24:25]
	v_add_f64 v[26:27], v[62:63], v[26:27]
	v_add_f64 v[62:63], v[30:31], -v[2:3]
	v_fma_f64 v[8:9], v[60:61], -0.5, v[8:9]
	v_fma_f64 v[60:61], v[64:65], -0.5, v[10:11]
	;; [unrolled: 1-line block ×3, first 2 shown]
	v_add_f64 v[18:19], v[40:41], -v[24:25]
	v_add_f64 v[64:65], v[24:25], -v[40:41]
	v_add_f64 v[58:59], v[68:69], v[58:59]
	v_add_f64 v[68:69], v[44:45], -v[32:33]
	v_add_f64 v[62:63], v[70:71], v[62:63]
	;; [unrolled: 2-line block ×4, first 2 shown]
	v_add_f64 v[28:29], v[80:81], v[32:33]
	v_add_f64 v[40:41], v[40:41], -v[44:45]
	v_add_f64 v[18:19], v[18:19], v[68:69]
	v_add_f64 v[68:69], v[46:47], -v[34:35]
	;; [unrolled: 2-line block ×3, first 2 shown]
	v_add_f64 v[16:17], v[16:17], -v[0:1]
	v_add_f64 v[22:23], v[22:23], v[34:35]
	v_fma_f64 v[30:31], v[50:51], s[6:7], v[48:49]
	v_fma_f64 v[32:33], v[50:51], s[4:5], v[48:49]
	;; [unrolled: 1-line block ×3, first 2 shown]
	v_add_f64 v[68:69], v[76:77], v[68:69]
	v_fma_f64 v[8:9], v[52:53], s[6:7], v[8:9]
	v_add_f64 v[42:43], v[42:43], v[70:71]
	v_fma_f64 v[70:71], v[66:67], s[6:7], v[10:11]
	v_fma_f64 v[10:11], v[66:67], s[4:5], v[10:11]
	;; [unrolled: 1-line block ×3, first 2 shown]
	v_add_f64 v[20:21], v[20:21], v[2:3]
	v_fma_f64 v[2:3], v[78:79], s[6:7], v[36:37]
	v_fma_f64 v[72:73], v[56:57], s[4:5], v[72:73]
	v_add_f64 v[12:13], v[12:13], v[0:1]
	v_fma_f64 v[0:1], v[78:79], s[4:5], v[36:37]
	v_add_f64 v[28:29], v[28:29], v[44:45]
	v_fma_f64 v[44:45], v[24:25], s[6:7], v[38:39]
	v_fma_f64 v[38:39], v[24:25], s[4:5], v[38:39]
	;; [unrolled: 1-line block ×14, first 2 shown]
	v_add_f64 v[22:23], v[22:23], v[46:47]
	v_fma_f64 v[52:53], v[78:79], s[0:1], v[72:73]
	v_fma_f64 v[0:1], v[56:57], s[10:11], v[0:1]
	;; [unrolled: 1-line block ×15, first 2 shown]
	v_add_f64 v[0:1], v[12:13], v[28:29]
	v_add_f64 v[2:3], v[20:21], v[22:23]
	v_fma_f64 v[38:39], v[42:43], s[12:13], v[38:39]
	v_fma_f64 v[24:25], v[68:69], s[12:13], v[24:25]
	;; [unrolled: 1-line block ×9, first 2 shown]
	v_add_f64 v[10:11], v[20:21], -v[22:23]
	v_mul_f64 v[20:21], v[16:17], s[14:15]
	v_mul_f64 v[22:23], v[54:55], s[12:13]
	;; [unrolled: 1-line block ×3, first 2 shown]
	s_waitcnt lgkmcnt(0)
	; wave barrier
	v_add_f64 v[8:9], v[12:13], -v[28:29]
	v_mul_f64 v[12:13], v[44:45], s[6:7]
	ds_write_b128 v82, v[0:3]
	v_mul_f64 v[0:1], v[52:53], s[4:5]
	v_mul_f64 v[2:3], v[38:39], s[12:13]
	v_mul_f64 v[28:29], v[18:19], s[14:15]
	v_mul_f64 v[42:43], v[24:25], s[14:15]
	v_fma_f64 v[56:57], v[36:37], s[10:11], v[20:21]
	v_fma_f64 v[38:39], v[38:39], s[6:7], -v[22:23]
	v_fma_f64 v[22:23], v[36:37], s[14:15], v[16:17]
	v_fma_f64 v[12:13], v[52:53], s[12:13], v[12:13]
	;; [unrolled: 1-line block ×3, first 2 shown]
	v_fma_f64 v[54:55], v[54:55], s[4:5], -v[2:3]
	v_fma_f64 v[52:53], v[24:25], s[10:11], -v[28:29]
	;; [unrolled: 1-line block ×3, first 2 shown]
	v_add_f64 v[0:1], v[30:31], v[56:57]
	v_add_f64 v[20:21], v[34:35], v[38:39]
	;; [unrolled: 1-line block ×5, first 2 shown]
	v_add_f64 v[26:27], v[26:27], -v[22:23]
	v_add_f64 v[22:23], v[50:51], v[54:55]
	v_add_f64 v[24:25], v[30:31], -v[56:57]
	v_add_f64 v[28:29], v[40:41], v[52:53]
	v_add_f64 v[30:31], v[46:47], v[42:43]
	v_add_f64 v[32:33], v[32:33], -v[12:13]
	v_add_f64 v[36:37], v[34:35], -v[38:39]
	;; [unrolled: 1-line block ×6, first 2 shown]
	ds_write_b128 v82, v[0:3] offset:16
	ds_write_b128 v82, v[16:19] offset:32
	ds_write_b128 v82, v[20:23] offset:48
	ds_write_b128 v82, v[28:31] offset:64
	ds_write_b128 v82, v[8:11] offset:80
	ds_write_b128 v82, v[24:27] offset:96
	ds_write_b128 v82, v[32:35] offset:112
	ds_write_b128 v82, v[36:39] offset:128
	ds_write_b128 v82, v[40:43] offset:144
	v_mul_u32_u24_e32 v0, 9, v4
	v_lshlrev_b32_e32 v12, 4, v0
	s_waitcnt lgkmcnt(0)
	; wave barrier
	s_waitcnt lgkmcnt(0)
	global_load_dwordx4 v[0:3], v12, s[8:9]
	global_load_dwordx4 v[8:11], v12, s[8:9] offset:16
	global_load_dwordx4 v[16:19], v12, s[8:9] offset:32
	;; [unrolled: 1-line block ×8, first 2 shown]
	ds_read_b128 v[44:47], v5 offset:160
	ds_read_b128 v[48:51], v5 offset:320
	;; [unrolled: 1-line block ×3, first 2 shown]
	ds_read_b128 v[56:59], v15
	ds_read_b128 v[60:63], v5 offset:640
	ds_read_b128 v[64:67], v5 offset:800
	s_waitcnt vmcnt(8) lgkmcnt(5)
	v_mul_f64 v[72:73], v[46:47], v[2:3]
	s_waitcnt vmcnt(7) lgkmcnt(4)
	v_mul_f64 v[74:75], v[50:51], v[10:11]
	v_mul_f64 v[76:77], v[48:49], v[10:11]
	;; [unrolled: 1-line block ×3, first 2 shown]
	s_waitcnt vmcnt(6) lgkmcnt(3)
	v_mul_f64 v[80:81], v[54:55], v[18:19]
	v_mul_f64 v[18:19], v[52:53], v[18:19]
	ds_read_b128 v[10:13], v5 offset:960
	ds_read_b128 v[68:71], v5 offset:1120
	v_fma_f64 v[72:73], v[44:45], v[0:1], -v[72:73]
	v_fma_f64 v[48:49], v[48:49], v[8:9], -v[74:75]
	v_fma_f64 v[8:9], v[50:51], v[8:9], v[76:77]
	s_waitcnt vmcnt(5) lgkmcnt(3)
	v_mul_f64 v[50:51], v[62:63], v[22:23]
	v_fma_f64 v[78:79], v[46:47], v[0:1], v[2:3]
	ds_read_b128 v[0:3], v5 offset:1280
	ds_read_b128 v[44:47], v5 offset:1440
	v_mul_f64 v[22:23], v[60:61], v[22:23]
	v_fma_f64 v[52:53], v[52:53], v[16:17], -v[80:81]
	v_fma_f64 v[15:16], v[54:55], v[16:17], v[18:19]
	s_waitcnt vmcnt(4) lgkmcnt(4)
	v_mul_f64 v[17:18], v[66:67], v[26:27]
	v_mul_f64 v[26:27], v[64:65], v[26:27]
	s_waitcnt vmcnt(3) lgkmcnt(3)
	v_mul_f64 v[54:55], v[12:13], v[30:31]
	v_fma_f64 v[50:51], v[60:61], v[20:21], -v[50:51]
	s_waitcnt vmcnt(1) lgkmcnt(1)
	v_mul_f64 v[60:61], v[2:3], v[38:39]
	v_mul_f64 v[30:31], v[10:11], v[30:31]
	;; [unrolled: 1-line block ×3, first 2 shown]
	v_fma_f64 v[19:20], v[62:63], v[20:21], v[22:23]
	v_mul_f64 v[21:22], v[70:71], v[34:35]
	v_mul_f64 v[34:35], v[68:69], v[34:35]
	v_fma_f64 v[17:18], v[64:65], v[24:25], -v[17:18]
	v_fma_f64 v[23:24], v[66:67], v[24:25], v[26:27]
	s_waitcnt vmcnt(0) lgkmcnt(0)
	v_mul_f64 v[25:26], v[46:47], v[42:43]
	v_mul_f64 v[42:43], v[44:45], v[42:43]
	v_fma_f64 v[10:11], v[10:11], v[28:29], -v[54:55]
	v_fma_f64 v[0:1], v[0:1], v[36:37], -v[60:61]
	v_fma_f64 v[12:13], v[12:13], v[28:29], v[30:31]
	v_fma_f64 v[2:3], v[2:3], v[36:37], v[38:39]
	v_fma_f64 v[21:22], v[68:69], v[32:33], -v[21:22]
	v_fma_f64 v[27:28], v[70:71], v[32:33], v[34:35]
	v_fma_f64 v[25:26], v[44:45], v[40:41], -v[25:26]
	v_fma_f64 v[29:30], v[46:47], v[40:41], v[42:43]
	v_add_f64 v[31:32], v[50:51], v[10:11]
	v_add_f64 v[33:34], v[48:49], v[0:1]
	;; [unrolled: 1-line block ×6, first 2 shown]
	v_add_f64 v[62:63], v[8:9], -v[19:20]
	v_add_f64 v[66:67], v[19:20], -v[8:9]
	;; [unrolled: 1-line block ×4, first 2 shown]
	v_fma_f64 v[31:32], v[31:32], -0.5, v[56:57]
	v_fma_f64 v[33:34], v[33:34], -0.5, v[56:57]
	v_add_f64 v[39:40], v[39:40], v[50:51]
	v_add_f64 v[19:20], v[41:42], v[19:20]
	v_add_f64 v[43:44], v[48:49], -v[50:51]
	v_add_f64 v[45:46], v[0:1], -v[10:11]
	;; [unrolled: 1-line block ×8, first 2 shown]
	v_fma_f64 v[35:36], v[35:36], -0.5, v[58:59]
	v_fma_f64 v[37:38], v[37:38], -0.5, v[58:59]
	v_add_f64 v[56:57], v[17:18], v[21:22]
	v_add_f64 v[10:11], v[39:40], v[10:11]
	;; [unrolled: 1-line block ×3, first 2 shown]
	v_fma_f64 v[19:20], v[8:9], s[6:7], v[31:32]
	v_fma_f64 v[31:32], v[8:9], s[4:5], v[31:32]
	;; [unrolled: 1-line block ×4, first 2 shown]
	v_add_f64 v[58:59], v[15:16], -v[29:30]
	v_add_f64 v[43:44], v[43:44], v[45:46]
	v_add_f64 v[45:46], v[54:55], v[60:61]
	;; [unrolled: 1-line block ×4, first 2 shown]
	v_fma_f64 v[56:57], v[56:57], -0.5, v[72:73]
	v_fma_f64 v[64:65], v[47:48], s[4:5], v[35:36]
	v_fma_f64 v[35:36], v[47:48], s[6:7], v[35:36]
	;; [unrolled: 1-line block ×3, first 2 shown]
	v_add_f64 v[49:50], v[52:53], v[25:26]
	v_fma_f64 v[37:38], v[76:77], s[4:5], v[37:38]
	v_add_f64 v[10:11], v[10:11], v[0:1]
	v_fma_f64 v[0:1], v[80:81], s[10:11], v[19:20]
	v_fma_f64 v[19:20], v[80:81], s[0:1], v[31:32]
	;; [unrolled: 1-line block ×4, first 2 shown]
	v_add_f64 v[41:42], v[23:24], -v[27:28]
	v_fma_f64 v[68:69], v[58:59], s[6:7], v[56:57]
	v_fma_f64 v[56:57], v[58:59], s[4:5], v[56:57]
	;; [unrolled: 1-line block ×4, first 2 shown]
	v_add_f64 v[12:13], v[12:13], v[2:3]
	v_fma_f64 v[2:3], v[76:77], s[0:1], v[64:65]
	v_fma_f64 v[37:38], v[47:48], s[10:11], v[37:38]
	;; [unrolled: 1-line block ×5, first 2 shown]
	v_fma_f64 v[0:1], v[49:50], -0.5, v[72:73]
	v_add_f64 v[8:9], v[23:24], v[27:28]
	v_fma_f64 v[43:44], v[43:44], s[12:13], v[19:20]
	v_fma_f64 v[49:50], v[54:55], s[12:13], v[33:34]
	;; [unrolled: 1-line block ×4, first 2 shown]
	v_add_f64 v[35:36], v[72:73], v[52:53]
	v_add_f64 v[56:57], v[15:16], v[29:30]
	v_add_f64 v[70:71], v[52:53], -v[17:18]
	v_add_f64 v[74:75], v[25:26], -v[21:22]
	v_fma_f64 v[47:48], v[54:55], s[12:13], v[2:3]
	v_fma_f64 v[54:55], v[60:61], s[12:13], v[37:38]
	;; [unrolled: 1-line block ×5, first 2 shown]
	v_add_f64 v[41:42], v[17:18], -v[52:53]
	v_add_f64 v[51:52], v[52:53], -v[25:26]
	v_fma_f64 v[8:9], v[8:9], -0.5, v[78:79]
	v_add_f64 v[60:61], v[21:22], -v[25:26]
	v_add_f64 v[35:36], v[35:36], v[17:18]
	v_add_f64 v[17:18], v[17:18], -v[21:22]
	v_fma_f64 v[56:57], v[56:57], -0.5, v[78:79]
	v_add_f64 v[62:63], v[70:71], v[74:75]
	v_add_f64 v[64:65], v[15:16], -v[23:24]
	v_add_f64 v[66:67], v[29:30], -v[27:28]
	v_add_f64 v[68:69], v[78:79], v[15:16]
	v_fma_f64 v[70:71], v[51:52], s[4:5], v[8:9]
	v_add_f64 v[41:42], v[41:42], v[60:61]
	v_add_f64 v[15:16], v[23:24], -v[15:16]
	v_add_f64 v[60:61], v[27:28], -v[29:30]
	v_fma_f64 v[72:73], v[17:18], s[6:7], v[56:57]
	v_add_f64 v[21:22], v[35:36], v[21:22]
	v_add_f64 v[35:36], v[64:65], v[66:67]
	;; [unrolled: 1-line block ×3, first 2 shown]
	v_fma_f64 v[64:65], v[17:18], s[0:1], v[70:71]
	v_fma_f64 v[8:9], v[51:52], s[6:7], v[8:9]
	;; [unrolled: 1-line block ×3, first 2 shown]
	v_add_f64 v[15:16], v[15:16], v[60:61]
	v_fma_f64 v[60:61], v[51:52], s[0:1], v[72:73]
	v_fma_f64 v[0:1], v[58:59], s[0:1], v[0:1]
	;; [unrolled: 1-line block ×3, first 2 shown]
	v_add_f64 v[21:22], v[21:22], v[25:26]
	v_fma_f64 v[25:26], v[35:36], s[12:13], v[64:65]
	v_fma_f64 v[8:9], v[17:18], s[10:11], v[8:9]
	v_add_f64 v[17:18], v[23:24], v[27:28]
	v_fma_f64 v[23:24], v[51:52], s[10:11], v[56:57]
	v_fma_f64 v[27:28], v[15:16], s[12:13], v[60:61]
	;; [unrolled: 1-line block ×6, first 2 shown]
	v_mul_f64 v[2:3], v[25:26], s[10:11]
	v_fma_f64 v[8:9], v[35:36], s[12:13], v[8:9]
	v_fma_f64 v[15:16], v[15:16], s[12:13], v[23:24]
	v_mul_f64 v[23:24], v[27:28], s[6:7]
	v_add_f64 v[17:18], v[17:18], v[29:30]
	v_mul_f64 v[37:38], v[0:1], s[0:1]
	v_mul_f64 v[29:30], v[51:52], s[12:13]
	;; [unrolled: 1-line block ×3, first 2 shown]
	v_fma_f64 v[58:59], v[0:1], s[14:15], v[2:3]
	v_mul_f64 v[35:36], v[56:57], s[14:15]
	v_mul_f64 v[2:3], v[15:16], s[12:13]
	v_fma_f64 v[60:61], v[19:20], s[12:13], v[23:24]
	v_mul_f64 v[23:24], v[8:9], s[14:15]
	v_fma_f64 v[25:26], v[25:26], s[14:15], v[37:38]
	v_fma_f64 v[62:63], v[15:16], s[6:7], -v[29:30]
	v_fma_f64 v[29:30], v[27:28], s[12:13], v[41:42]
	v_add_f64 v[0:1], v[10:11], v[21:22]
	v_fma_f64 v[64:65], v[8:9], s[10:11], -v[35:36]
	v_fma_f64 v[41:42], v[51:52], s[4:5], -v[2:3]
	v_add_f64 v[2:3], v[12:13], v[17:18]
	v_add_f64 v[17:18], v[12:13], -v[17:18]
	v_fma_f64 v[12:13], v[56:57], s[0:1], -v[23:24]
	v_add_f64 v[8:9], v[39:40], v[58:59]
	v_add_f64 v[15:16], v[10:11], -v[21:22]
	v_add_f64 v[10:11], v[47:48], v[25:26]
	v_add_f64 v[19:20], v[31:32], v[60:61]
	;; [unrolled: 1-line block ×4, first 2 shown]
	v_add_f64 v[33:34], v[33:34], -v[29:30]
	v_add_f64 v[29:30], v[54:55], v[41:42]
	v_add_f64 v[35:36], v[43:44], v[64:65]
	;; [unrolled: 1-line block ×3, first 2 shown]
	v_add_f64 v[23:24], v[39:40], -v[58:59]
	v_add_f64 v[25:26], v[47:48], -v[25:26]
	;; [unrolled: 1-line block ×7, first 2 shown]
	s_waitcnt lgkmcnt(0)
	; wave barrier
	ds_write_b128 v5, v[0:3]
	ds_write_b128 v5, v[8:11] offset:160
	ds_write_b128 v5, v[19:22] offset:320
	;; [unrolled: 1-line block ×9, first 2 shown]
	s_waitcnt lgkmcnt(0)
	; wave barrier
	s_waitcnt lgkmcnt(0)
	s_and_saveexec_b64 s[0:1], vcc
	s_cbranch_execz .LBB0_18
; %bb.17:
	v_lshl_add_u32 v12, v4, 4, v14
	v_mov_b32_e32 v5, 0
	ds_read_b128 v[0:3], v12
	v_mov_b32_e32 v8, s3
	v_add_co_u32_e32 v13, vcc, s2, v6
	v_addc_co_u32_e32 v14, vcc, v8, v7, vcc
	v_lshlrev_b64 v[6:7], 4, v[4:5]
	v_add_co_u32_e32 v10, vcc, v13, v6
	v_addc_co_u32_e32 v11, vcc, v14, v7, vcc
	ds_read_b128 v[6:9], v12 offset:160
	s_waitcnt lgkmcnt(1)
	global_store_dwordx4 v[10:11], v[0:3], off
	s_nop 0
	v_add_u32_e32 v0, 10, v4
	v_mov_b32_e32 v1, v5
	v_lshlrev_b64 v[0:1], 4, v[0:1]
	v_add_co_u32_e32 v0, vcc, v13, v0
	v_addc_co_u32_e32 v1, vcc, v14, v1, vcc
	s_waitcnt lgkmcnt(0)
	global_store_dwordx4 v[0:1], v[6:9], off
	ds_read_b128 v[0:3], v12 offset:320
	v_add_u32_e32 v6, 20, v4
	v_mov_b32_e32 v7, v5
	v_lshlrev_b64 v[6:7], 4, v[6:7]
	v_add_co_u32_e32 v10, vcc, v13, v6
	v_addc_co_u32_e32 v11, vcc, v14, v7, vcc
	ds_read_b128 v[6:9], v12 offset:480
	s_waitcnt lgkmcnt(1)
	global_store_dwordx4 v[10:11], v[0:3], off
	s_nop 0
	v_add_u32_e32 v0, 30, v4
	v_mov_b32_e32 v1, v5
	v_lshlrev_b64 v[0:1], 4, v[0:1]
	v_add_co_u32_e32 v0, vcc, v13, v0
	v_addc_co_u32_e32 v1, vcc, v14, v1, vcc
	s_waitcnt lgkmcnt(0)
	global_store_dwordx4 v[0:1], v[6:9], off
	ds_read_b128 v[0:3], v12 offset:640
	v_add_u32_e32 v6, 40, v4
	v_mov_b32_e32 v7, v5
	;; [unrolled: 17-line block ×4, first 2 shown]
	v_lshlrev_b64 v[6:7], 4, v[6:7]
	v_add_u32_e32 v4, 0x5a, v4
	v_add_co_u32_e32 v10, vcc, v13, v6
	v_addc_co_u32_e32 v11, vcc, v14, v7, vcc
	ds_read_b128 v[6:9], v12 offset:1440
	s_waitcnt lgkmcnt(1)
	global_store_dwordx4 v[10:11], v[0:3], off
	s_nop 0
	v_lshlrev_b64 v[0:1], 4, v[4:5]
	v_add_co_u32_e32 v0, vcc, v13, v0
	v_addc_co_u32_e32 v1, vcc, v14, v1, vcc
	s_waitcnt lgkmcnt(0)
	global_store_dwordx4 v[0:1], v[6:9], off
.LBB0_18:
	s_endpgm
	.section	.rodata,"a",@progbits
	.p2align	6, 0x0
	.amdhsa_kernel fft_rtc_fwd_len100_factors_10_10_wgs_60_tpt_10_halfLds_dp_ip_CI_unitstride_sbrr_C2R_dirReg
		.amdhsa_group_segment_fixed_size 0
		.amdhsa_private_segment_fixed_size 0
		.amdhsa_kernarg_size 88
		.amdhsa_user_sgpr_count 6
		.amdhsa_user_sgpr_private_segment_buffer 1
		.amdhsa_user_sgpr_dispatch_ptr 0
		.amdhsa_user_sgpr_queue_ptr 0
		.amdhsa_user_sgpr_kernarg_segment_ptr 1
		.amdhsa_user_sgpr_dispatch_id 0
		.amdhsa_user_sgpr_flat_scratch_init 0
		.amdhsa_user_sgpr_private_segment_size 0
		.amdhsa_uses_dynamic_stack 0
		.amdhsa_system_sgpr_private_segment_wavefront_offset 0
		.amdhsa_system_sgpr_workgroup_id_x 1
		.amdhsa_system_sgpr_workgroup_id_y 0
		.amdhsa_system_sgpr_workgroup_id_z 0
		.amdhsa_system_sgpr_workgroup_info 0
		.amdhsa_system_vgpr_workitem_id 0
		.amdhsa_next_free_vgpr 83
		.amdhsa_next_free_sgpr 22
		.amdhsa_reserve_vcc 1
		.amdhsa_reserve_flat_scratch 0
		.amdhsa_float_round_mode_32 0
		.amdhsa_float_round_mode_16_64 0
		.amdhsa_float_denorm_mode_32 3
		.amdhsa_float_denorm_mode_16_64 3
		.amdhsa_dx10_clamp 1
		.amdhsa_ieee_mode 1
		.amdhsa_fp16_overflow 0
		.amdhsa_exception_fp_ieee_invalid_op 0
		.amdhsa_exception_fp_denorm_src 0
		.amdhsa_exception_fp_ieee_div_zero 0
		.amdhsa_exception_fp_ieee_overflow 0
		.amdhsa_exception_fp_ieee_underflow 0
		.amdhsa_exception_fp_ieee_inexact 0
		.amdhsa_exception_int_div_zero 0
	.end_amdhsa_kernel
	.text
.Lfunc_end0:
	.size	fft_rtc_fwd_len100_factors_10_10_wgs_60_tpt_10_halfLds_dp_ip_CI_unitstride_sbrr_C2R_dirReg, .Lfunc_end0-fft_rtc_fwd_len100_factors_10_10_wgs_60_tpt_10_halfLds_dp_ip_CI_unitstride_sbrr_C2R_dirReg
                                        ; -- End function
	.section	.AMDGPU.csdata,"",@progbits
; Kernel info:
; codeLenInByte = 6176
; NumSgprs: 26
; NumVgprs: 83
; ScratchSize: 0
; MemoryBound: 0
; FloatMode: 240
; IeeeMode: 1
; LDSByteSize: 0 bytes/workgroup (compile time only)
; SGPRBlocks: 3
; VGPRBlocks: 20
; NumSGPRsForWavesPerEU: 26
; NumVGPRsForWavesPerEU: 83
; Occupancy: 3
; WaveLimiterHint : 1
; COMPUTE_PGM_RSRC2:SCRATCH_EN: 0
; COMPUTE_PGM_RSRC2:USER_SGPR: 6
; COMPUTE_PGM_RSRC2:TRAP_HANDLER: 0
; COMPUTE_PGM_RSRC2:TGID_X_EN: 1
; COMPUTE_PGM_RSRC2:TGID_Y_EN: 0
; COMPUTE_PGM_RSRC2:TGID_Z_EN: 0
; COMPUTE_PGM_RSRC2:TIDIG_COMP_CNT: 0
	.type	__hip_cuid_b73a1164f102018e,@object ; @__hip_cuid_b73a1164f102018e
	.section	.bss,"aw",@nobits
	.globl	__hip_cuid_b73a1164f102018e
__hip_cuid_b73a1164f102018e:
	.byte	0                               ; 0x0
	.size	__hip_cuid_b73a1164f102018e, 1

	.ident	"AMD clang version 19.0.0git (https://github.com/RadeonOpenCompute/llvm-project roc-6.4.0 25133 c7fe45cf4b819c5991fe208aaa96edf142730f1d)"
	.section	".note.GNU-stack","",@progbits
	.addrsig
	.addrsig_sym __hip_cuid_b73a1164f102018e
	.amdgpu_metadata
---
amdhsa.kernels:
  - .args:
      - .actual_access:  read_only
        .address_space:  global
        .offset:         0
        .size:           8
        .value_kind:     global_buffer
      - .offset:         8
        .size:           8
        .value_kind:     by_value
      - .actual_access:  read_only
        .address_space:  global
        .offset:         16
        .size:           8
        .value_kind:     global_buffer
      - .actual_access:  read_only
        .address_space:  global
        .offset:         24
        .size:           8
        .value_kind:     global_buffer
      - .offset:         32
        .size:           8
        .value_kind:     by_value
      - .actual_access:  read_only
        .address_space:  global
        .offset:         40
        .size:           8
        .value_kind:     global_buffer
      - .actual_access:  read_only
        .address_space:  global
        .offset:         48
        .size:           8
        .value_kind:     global_buffer
      - .offset:         56
        .size:           4
        .value_kind:     by_value
      - .actual_access:  read_only
        .address_space:  global
        .offset:         64
        .size:           8
        .value_kind:     global_buffer
      - .actual_access:  read_only
        .address_space:  global
        .offset:         72
        .size:           8
        .value_kind:     global_buffer
      - .address_space:  global
        .offset:         80
        .size:           8
        .value_kind:     global_buffer
    .group_segment_fixed_size: 0
    .kernarg_segment_align: 8
    .kernarg_segment_size: 88
    .language:       OpenCL C
    .language_version:
      - 2
      - 0
    .max_flat_workgroup_size: 60
    .name:           fft_rtc_fwd_len100_factors_10_10_wgs_60_tpt_10_halfLds_dp_ip_CI_unitstride_sbrr_C2R_dirReg
    .private_segment_fixed_size: 0
    .sgpr_count:     26
    .sgpr_spill_count: 0
    .symbol:         fft_rtc_fwd_len100_factors_10_10_wgs_60_tpt_10_halfLds_dp_ip_CI_unitstride_sbrr_C2R_dirReg.kd
    .uniform_work_group_size: 1
    .uses_dynamic_stack: false
    .vgpr_count:     83
    .vgpr_spill_count: 0
    .wavefront_size: 64
amdhsa.target:   amdgcn-amd-amdhsa--gfx906
amdhsa.version:
  - 1
  - 2
...

	.end_amdgpu_metadata
